;; amdgpu-corpus repo=ROCm/rocFFT kind=compiled arch=gfx1030 opt=O3
	.text
	.amdgcn_target "amdgcn-amd-amdhsa--gfx1030"
	.amdhsa_code_object_version 6
	.protected	fft_rtc_fwd_len96_factors_6_16_wgs_128_tpt_16_half_op_CI_CI_unitstride_sbrr_dirReg ; -- Begin function fft_rtc_fwd_len96_factors_6_16_wgs_128_tpt_16_half_op_CI_CI_unitstride_sbrr_dirReg
	.globl	fft_rtc_fwd_len96_factors_6_16_wgs_128_tpt_16_half_op_CI_CI_unitstride_sbrr_dirReg
	.p2align	8
	.type	fft_rtc_fwd_len96_factors_6_16_wgs_128_tpt_16_half_op_CI_CI_unitstride_sbrr_dirReg,@function
fft_rtc_fwd_len96_factors_6_16_wgs_128_tpt_16_half_op_CI_CI_unitstride_sbrr_dirReg: ; @fft_rtc_fwd_len96_factors_6_16_wgs_128_tpt_16_half_op_CI_CI_unitstride_sbrr_dirReg
; %bb.0:
	s_clause 0x2
	s_load_dwordx4 s[12:15], s[4:5], 0x0
	s_load_dwordx4 s[8:11], s[4:5], 0x58
	;; [unrolled: 1-line block ×3, first 2 shown]
	v_lshrrev_b32_e32 v12, 4, v0
	v_mov_b32_e32 v8, 0
	v_mov_b32_e32 v6, 0
	;; [unrolled: 1-line block ×3, first 2 shown]
	v_lshl_or_b32 v10, s6, 3, v12
	v_mov_b32_e32 v11, v8
	s_waitcnt lgkmcnt(0)
	v_cmp_lt_u64_e64 s0, s[14:15], 2
	s_and_b32 vcc_lo, exec_lo, s0
	s_cbranch_vccnz .LBB0_8
; %bb.1:
	s_load_dwordx2 s[0:1], s[4:5], 0x10
	v_mov_b32_e32 v6, 0
	v_mov_b32_e32 v7, 0
	s_add_u32 s2, s18, 8
	s_addc_u32 s3, s19, 0
	v_mov_b32_e32 v1, v6
	s_add_u32 s6, s16, 8
	v_mov_b32_e32 v2, v7
	s_addc_u32 s7, s17, 0
	s_mov_b64 s[22:23], 1
	s_waitcnt lgkmcnt(0)
	s_add_u32 s20, s0, 8
	s_addc_u32 s21, s1, 0
.LBB0_2:                                ; =>This Inner Loop Header: Depth=1
	s_load_dwordx2 s[24:25], s[20:21], 0x0
                                        ; implicit-def: $vgpr3_vgpr4
	s_mov_b32 s0, exec_lo
	s_waitcnt lgkmcnt(0)
	v_or_b32_e32 v9, s25, v11
	v_cmpx_ne_u64_e32 0, v[8:9]
	s_xor_b32 s1, exec_lo, s0
	s_cbranch_execz .LBB0_4
; %bb.3:                                ;   in Loop: Header=BB0_2 Depth=1
	v_cvt_f32_u32_e32 v3, s24
	v_cvt_f32_u32_e32 v4, s25
	s_sub_u32 s0, 0, s24
	s_subb_u32 s26, 0, s25
	v_fmac_f32_e32 v3, 0x4f800000, v4
	v_rcp_f32_e32 v3, v3
	v_mul_f32_e32 v3, 0x5f7ffffc, v3
	v_mul_f32_e32 v4, 0x2f800000, v3
	v_trunc_f32_e32 v4, v4
	v_fmac_f32_e32 v3, 0xcf800000, v4
	v_cvt_u32_f32_e32 v4, v4
	v_cvt_u32_f32_e32 v3, v3
	v_mul_lo_u32 v5, s0, v4
	v_mul_hi_u32 v9, s0, v3
	v_mul_lo_u32 v13, s26, v3
	v_add_nc_u32_e32 v5, v9, v5
	v_mul_lo_u32 v9, s0, v3
	v_add_nc_u32_e32 v5, v5, v13
	v_mul_hi_u32 v13, v3, v9
	v_mul_lo_u32 v14, v3, v5
	v_mul_hi_u32 v15, v3, v5
	v_mul_hi_u32 v16, v4, v9
	v_mul_lo_u32 v9, v4, v9
	v_mul_hi_u32 v17, v4, v5
	v_mul_lo_u32 v5, v4, v5
	v_add_co_u32 v13, vcc_lo, v13, v14
	v_add_co_ci_u32_e32 v14, vcc_lo, 0, v15, vcc_lo
	v_add_co_u32 v9, vcc_lo, v13, v9
	v_add_co_ci_u32_e32 v9, vcc_lo, v14, v16, vcc_lo
	v_add_co_ci_u32_e32 v13, vcc_lo, 0, v17, vcc_lo
	v_add_co_u32 v5, vcc_lo, v9, v5
	v_add_co_ci_u32_e32 v9, vcc_lo, 0, v13, vcc_lo
	v_add_co_u32 v3, vcc_lo, v3, v5
	v_add_co_ci_u32_e32 v4, vcc_lo, v4, v9, vcc_lo
	v_mul_hi_u32 v5, s0, v3
	v_mul_lo_u32 v13, s26, v3
	v_mul_lo_u32 v9, s0, v4
	v_add_nc_u32_e32 v5, v5, v9
	v_mul_lo_u32 v9, s0, v3
	v_add_nc_u32_e32 v5, v5, v13
	v_mul_hi_u32 v13, v3, v9
	v_mul_lo_u32 v14, v3, v5
	v_mul_hi_u32 v15, v3, v5
	v_mul_hi_u32 v16, v4, v9
	v_mul_lo_u32 v9, v4, v9
	v_mul_hi_u32 v17, v4, v5
	v_mul_lo_u32 v5, v4, v5
	v_add_co_u32 v13, vcc_lo, v13, v14
	v_add_co_ci_u32_e32 v14, vcc_lo, 0, v15, vcc_lo
	v_add_co_u32 v9, vcc_lo, v13, v9
	v_add_co_ci_u32_e32 v9, vcc_lo, v14, v16, vcc_lo
	v_add_co_ci_u32_e32 v13, vcc_lo, 0, v17, vcc_lo
	v_add_co_u32 v5, vcc_lo, v9, v5
	v_add_co_ci_u32_e32 v9, vcc_lo, 0, v13, vcc_lo
	v_add_co_u32 v5, vcc_lo, v3, v5
	v_add_co_ci_u32_e32 v9, vcc_lo, v4, v9, vcc_lo
	v_mul_hi_u32 v17, v10, v5
	v_mad_u64_u32 v[13:14], null, v11, v5, 0
	v_mad_u64_u32 v[3:4], null, v10, v9, 0
	;; [unrolled: 1-line block ×3, first 2 shown]
	v_add_co_u32 v3, vcc_lo, v17, v3
	v_add_co_ci_u32_e32 v4, vcc_lo, 0, v4, vcc_lo
	v_add_co_u32 v3, vcc_lo, v3, v13
	v_add_co_ci_u32_e32 v3, vcc_lo, v4, v14, vcc_lo
	v_add_co_ci_u32_e32 v4, vcc_lo, 0, v16, vcc_lo
	v_add_co_u32 v5, vcc_lo, v3, v15
	v_add_co_ci_u32_e32 v9, vcc_lo, 0, v4, vcc_lo
	v_mul_lo_u32 v13, s25, v5
	v_mad_u64_u32 v[3:4], null, s24, v5, 0
	v_mul_lo_u32 v14, s24, v9
	v_sub_co_u32 v3, vcc_lo, v10, v3
	v_add3_u32 v4, v4, v14, v13
	v_sub_nc_u32_e32 v13, v11, v4
	v_subrev_co_ci_u32_e64 v13, s0, s25, v13, vcc_lo
	v_add_co_u32 v14, s0, v5, 2
	v_add_co_ci_u32_e64 v15, s0, 0, v9, s0
	v_sub_co_u32 v16, s0, v3, s24
	v_sub_co_ci_u32_e32 v4, vcc_lo, v11, v4, vcc_lo
	v_subrev_co_ci_u32_e64 v13, s0, 0, v13, s0
	v_cmp_le_u32_e32 vcc_lo, s24, v16
	v_cmp_eq_u32_e64 s0, s25, v4
	v_cndmask_b32_e64 v16, 0, -1, vcc_lo
	v_cmp_le_u32_e32 vcc_lo, s25, v13
	v_cndmask_b32_e64 v17, 0, -1, vcc_lo
	v_cmp_le_u32_e32 vcc_lo, s24, v3
	;; [unrolled: 2-line block ×3, first 2 shown]
	v_cndmask_b32_e64 v18, 0, -1, vcc_lo
	v_cmp_eq_u32_e32 vcc_lo, s25, v13
	v_cndmask_b32_e64 v3, v18, v3, s0
	v_cndmask_b32_e32 v13, v17, v16, vcc_lo
	v_add_co_u32 v16, vcc_lo, v5, 1
	v_add_co_ci_u32_e32 v17, vcc_lo, 0, v9, vcc_lo
	v_cmp_ne_u32_e32 vcc_lo, 0, v13
	v_cndmask_b32_e32 v4, v17, v15, vcc_lo
	v_cndmask_b32_e32 v13, v16, v14, vcc_lo
	v_cmp_ne_u32_e32 vcc_lo, 0, v3
	v_cndmask_b32_e32 v4, v9, v4, vcc_lo
	v_cndmask_b32_e32 v3, v5, v13, vcc_lo
.LBB0_4:                                ;   in Loop: Header=BB0_2 Depth=1
	s_andn2_saveexec_b32 s0, s1
	s_cbranch_execz .LBB0_6
; %bb.5:                                ;   in Loop: Header=BB0_2 Depth=1
	v_cvt_f32_u32_e32 v3, s24
	s_sub_i32 s1, 0, s24
	v_rcp_iflag_f32_e32 v3, v3
	v_mul_f32_e32 v3, 0x4f7ffffe, v3
	v_cvt_u32_f32_e32 v3, v3
	v_mul_lo_u32 v4, s1, v3
	v_mul_hi_u32 v4, v3, v4
	v_add_nc_u32_e32 v3, v3, v4
	v_mul_hi_u32 v3, v10, v3
	v_mul_lo_u32 v4, v3, s24
	v_add_nc_u32_e32 v5, 1, v3
	v_sub_nc_u32_e32 v4, v10, v4
	v_subrev_nc_u32_e32 v9, s24, v4
	v_cmp_le_u32_e32 vcc_lo, s24, v4
	v_cndmask_b32_e32 v4, v4, v9, vcc_lo
	v_cndmask_b32_e32 v3, v3, v5, vcc_lo
	v_cmp_le_u32_e32 vcc_lo, s24, v4
	v_add_nc_u32_e32 v5, 1, v3
	v_mov_b32_e32 v4, v8
	v_cndmask_b32_e32 v3, v3, v5, vcc_lo
.LBB0_6:                                ;   in Loop: Header=BB0_2 Depth=1
	s_or_b32 exec_lo, exec_lo, s0
	v_mul_lo_u32 v5, v4, s24
	v_mul_lo_u32 v9, v3, s25
	s_load_dwordx2 s[0:1], s[6:7], 0x0
	v_mad_u64_u32 v[13:14], null, v3, s24, 0
	s_load_dwordx2 s[24:25], s[2:3], 0x0
	s_add_u32 s22, s22, 1
	s_addc_u32 s23, s23, 0
	s_add_u32 s2, s2, 8
	s_addc_u32 s3, s3, 0
	s_add_u32 s6, s6, 8
	v_add3_u32 v5, v14, v9, v5
	v_sub_co_u32 v9, vcc_lo, v10, v13
	s_addc_u32 s7, s7, 0
	s_add_u32 s20, s20, 8
	v_sub_co_ci_u32_e32 v5, vcc_lo, v11, v5, vcc_lo
	s_addc_u32 s21, s21, 0
	s_waitcnt lgkmcnt(0)
	v_mul_lo_u32 v10, s0, v5
	v_mul_lo_u32 v11, s1, v9
	v_mad_u64_u32 v[6:7], null, s0, v9, v[6:7]
	v_mul_lo_u32 v5, s24, v5
	v_mul_lo_u32 v13, s25, v9
	v_mad_u64_u32 v[1:2], null, s24, v9, v[1:2]
	v_cmp_ge_u64_e64 s0, s[22:23], s[14:15]
	v_add3_u32 v7, v11, v7, v10
	v_add3_u32 v2, v13, v2, v5
	s_and_b32 vcc_lo, exec_lo, s0
	s_cbranch_vccnz .LBB0_9
; %bb.7:                                ;   in Loop: Header=BB0_2 Depth=1
	v_mov_b32_e32 v11, v4
	v_mov_b32_e32 v10, v3
	s_branch .LBB0_2
.LBB0_8:
	v_mov_b32_e32 v1, v6
	v_mov_b32_e32 v3, v10
	;; [unrolled: 1-line block ×4, first 2 shown]
.LBB0_9:
	s_load_dwordx2 s[0:1], s[4:5], 0x28
	s_lshl_b64 s[4:5], s[14:15], 3
	v_and_b32_e32 v5, 15, v0
	s_add_u32 s2, s18, s4
	s_addc_u32 s3, s19, s5
	s_waitcnt lgkmcnt(0)
	v_cmp_gt_u64_e32 vcc_lo, s[0:1], v[3:4]
	v_cmp_le_u64_e64 s0, s[0:1], v[3:4]
	s_and_saveexec_b32 s1, s0
	s_xor_b32 s0, exec_lo, s1
; %bb.10:
	v_and_b32_e32 v5, 15, v0
                                        ; implicit-def: $vgpr6_vgpr7
; %bb.11:
	s_or_saveexec_b32 s1, s0
	v_mul_u32_u24_e32 v8, 0x60, v12
	v_lshlrev_b32_e32 v0, 2, v8
	s_xor_b32 exec_lo, exec_lo, s1
	s_cbranch_execz .LBB0_13
; %bb.12:
	s_add_u32 s4, s16, s4
	s_addc_u32 s5, s17, s5
	v_lshlrev_b64 v[6:7], 2, v[6:7]
	s_load_dwordx2 s[4:5], s[4:5], 0x0
	s_waitcnt lgkmcnt(0)
	v_mul_lo_u32 v11, s5, v3
	v_mul_lo_u32 v12, s4, v4
	v_mad_u64_u32 v[9:10], null, s4, v3, 0
	v_add3_u32 v10, v10, v12, v11
	v_lshlrev_b32_e32 v11, 2, v5
	v_lshlrev_b64 v[9:10], 2, v[9:10]
	v_add_co_u32 v9, s0, s8, v9
	v_add_co_ci_u32_e64 v10, s0, s9, v10, s0
	v_add_co_u32 v6, s0, v9, v6
	v_add_co_ci_u32_e64 v7, s0, v10, v7, s0
	;; [unrolled: 2-line block ×3, first 2 shown]
	v_add3_u32 v11, 0, v0, v11
	s_clause 0x5
	global_load_dword v9, v[6:7], off
	global_load_dword v10, v[6:7], off offset:64
	global_load_dword v12, v[6:7], off offset:128
	;; [unrolled: 1-line block ×5, first 2 shown]
	v_or_b32_e32 v7, v8, v5
	v_add_nc_u32_e32 v8, v8, v5
	v_lshl_add_u32 v7, v7, 2, 0
	v_lshl_add_u32 v8, v8, 2, 0
	s_waitcnt vmcnt(5)
	ds_write_b32 v7, v9
	s_waitcnt vmcnt(4)
	ds_write_b32 v8, v10 offset:64
	s_waitcnt vmcnt(2)
	ds_write2_b32 v11, v12, v13 offset0:32 offset1:48
	s_waitcnt vmcnt(0)
	ds_write2_b32 v11, v14, v6 offset0:64 offset1:80
.LBB0_13:
	s_or_b32 exec_lo, exec_lo, s1
	v_lshlrev_b32_e32 v8, 2, v5
	s_load_dwordx2 s[2:3], s[2:3], 0x0
	s_waitcnt lgkmcnt(0)
	s_barrier
	buffer_gl0_inv
	v_add3_u32 v20, 0, v8, v0
	v_add_nc_u32_e32 v0, 0, v0
	v_cmp_gt_u32_e64 s0, 6, v5
                                        ; implicit-def: $vgpr23
                                        ; implicit-def: $vgpr26
                                        ; implicit-def: $vgpr31
                                        ; implicit-def: $vgpr28
                                        ; implicit-def: $vgpr30
                                        ; implicit-def: $vgpr35
                                        ; implicit-def: $vgpr18
                                        ; implicit-def: $vgpr37
                                        ; implicit-def: $vgpr38
                                        ; implicit-def: $vgpr34
                                        ; implicit-def: $vgpr33
                                        ; implicit-def: $vgpr36
	ds_read2_b32 v[6:7], v20 offset0:48 offset1:64
	ds_read_b32 v10, v20 offset:320
	v_add_nc_u32_e32 v21, v0, v8
	v_mad_u32_u24 v17, v5, 20, v20
	ds_read2_b32 v[8:9], v20 offset0:16 offset1:32
	ds_read_b32 v11, v21
	s_waitcnt lgkmcnt(0)
	s_barrier
	buffer_gl0_inv
	v_pk_add_f16 v12, v6, v10
	v_pk_add_f16 v13, v6, v10 neg_lo:[0,1] neg_hi:[0,1]
	v_pk_add_f16 v6, v8, v6
	v_pk_fma_f16 v12, v12, 0.5, v8 op_sel_hi:[1,0,1] neg_lo:[1,0,0] neg_hi:[1,0,0]
	v_pk_add_f16 v14, v11, v9
	v_pk_add_f16 v8, v9, v7
	v_pk_add_f16 v9, v9, v7 neg_lo:[0,1] neg_hi:[0,1]
	v_pk_add_f16 v6, v6, v10
	v_pk_fma_f16 v15, 0x3aee, v13, v12 op_sel:[0,0,1] op_sel_hi:[0,1,0]
	v_pk_fma_f16 v12, 0x3aee, v13, v12 op_sel:[0,0,1] op_sel_hi:[0,1,0] neg_lo:[0,1,0] neg_hi:[0,1,0]
	v_pk_add_f16 v7, v14, v7
	v_pk_fma_f16 v8, v8, 0.5, v11 op_sel_hi:[1,0,1] neg_lo:[1,0,0] neg_hi:[1,0,0]
	v_pk_mul_f16 v9, 0x3aee, v9 op_sel_hi:[0,1]
	v_lshrrev_b32_e32 v13, 16, v15
	v_bfi_b32 v15, 0xffff, v15, v12
	v_mul_f16_e32 v10, 0x3aee, v12
	v_pk_add_f16 v22, v7, v6
	v_pk_add_f16 v16, v8, v9 op_sel:[0,1] op_sel_hi:[1,0]
	v_mul_f16_e32 v11, 0xbaee, v13
	v_pk_mul_f16 v14, v15, 0.5 op_sel_hi:[1,0]
	v_pk_add_f16 v8, v8, v9 op_sel:[0,1] op_sel_hi:[1,0] neg_lo:[0,1] neg_hi:[0,1]
	v_fmac_f16_e32 v10, 0.5, v13
	v_pk_add_f16 v6, v7, v6 neg_lo:[0,1] neg_hi:[0,1]
	v_fmac_f16_e32 v11, 0.5, v12
	v_pk_fma_f16 v12, 0xbaee3aee, v15, v14 op_sel:[0,0,1] op_sel_hi:[1,1,0] neg_lo:[0,0,1] neg_hi:[0,0,1]
	v_bfi_b32 v9, 0xffff, v8, v16
	v_add_f16_e32 v14, v16, v10
	v_lshrrev_b32_e32 v27, 16, v6
	v_add_f16_sdwa v24, v8, v11 dst_sel:DWORD dst_unused:UNUSED_PAD src0_sel:WORD_1 src1_sel:DWORD
	v_pack_b32_f16 v7, v11, v12
	v_sub_f16_sdwa v29, v16, v12 dst_sel:DWORD dst_unused:UNUSED_PAD src0_sel:WORD_1 src1_sel:WORD_1
	v_pk_add_f16 v15, v9, v12
                                        ; implicit-def: $vgpr11
                                        ; implicit-def: $vgpr12
	v_pk_add_f16 v25, v8, v7 op_sel:[1,0] op_sel_hi:[0,1] neg_lo:[0,1] neg_hi:[0,1]
	v_sub_f16_e32 v7, v16, v10
	v_lshrrev_b32_e32 v32, 16, v15
	v_pack_b32_f16 v8, v14, v24
	ds_write2_b32 v17, v15, v6 offset0:2 offset1:3
	ds_write2_b32 v17, v22, v8 offset1:1
	v_alignbit_b32 v9, v29, v25, 16
	v_pack_b32_f16 v10, v7, v25
	v_lshrrev_b32_e32 v16, 16, v25
                                        ; implicit-def: $vgpr8
	ds_write2_b32 v17, v10, v9 offset0:4 offset1:5
	s_waitcnt lgkmcnt(0)
	s_barrier
	buffer_gl0_inv
	s_and_saveexec_b32 s1, s0
	s_cbranch_execz .LBB0_15
; %bb.14:
	ds_read2_b32 v[10:11], v20 offset0:42 offset1:48
	ds_read2_b32 v[12:13], v20 offset0:54 offset1:60
	;; [unrolled: 1-line block ×4, first 2 shown]
	ds_read_b32 v34, v20 offset:360
	ds_read2_b32 v[14:15], v20 offset0:6 offset1:12
	ds_read2_b32 v[6:7], v20 offset0:18 offset1:24
	;; [unrolled: 1-line block ×3, first 2 shown]
	ds_read_b32 v22, v21
	s_waitcnt lgkmcnt(8)
	v_lshrrev_b32_e32 v23, 16, v11
	s_waitcnt lgkmcnt(7)
	v_lshrrev_b32_e32 v26, 16, v12
	v_lshrrev_b32_e32 v31, 16, v13
	s_waitcnt lgkmcnt(6)
	v_lshrrev_b32_e32 v28, 16, v8
	v_lshrrev_b32_e32 v30, 16, v9
	s_waitcnt lgkmcnt(5)
	v_lshrrev_b32_e32 v35, 16, v18
	v_lshrrev_b32_e32 v37, 16, v19
	s_waitcnt lgkmcnt(4)
	v_lshrrev_b32_e32 v38, 16, v34
	s_waitcnt lgkmcnt(3)
	v_lshrrev_b32_e32 v24, 16, v14
	v_lshrrev_b32_e32 v32, 16, v15
	s_waitcnt lgkmcnt(2)
	v_lshrrev_b32_e32 v27, 16, v6
	v_lshrrev_b32_e32 v25, 16, v7
	;; [unrolled: 3-line block ×3, first 2 shown]
	v_lshrrev_b32_e32 v33, 16, v10
.LBB0_15:
	s_or_b32 exec_lo, exec_lo, s1
	s_waitcnt lgkmcnt(0)
	s_barrier
	buffer_gl0_inv
	s_and_saveexec_b32 s1, s0
	s_cbranch_execz .LBB0_17
; %bb.16:
	v_and_b32_e32 v39, 0xff, v5
	v_mov_b32_e32 v40, 2
	v_lshrrev_b32_e32 v54, 16, v22
	v_mul_lo_u16 v39, 0xab, v39
	v_lshrrev_b16 v39, 10, v39
	v_mul_lo_u16 v39, v39, 6
	v_sub_nc_u16 v39, v5, v39
	v_mul_lo_u16 v39, v39, 15
	v_lshlrev_b32_sdwa v47, v40, v39 dst_sel:DWORD dst_unused:UNUSED_PAD src0_sel:DWORD src1_sel:BYTE_0
	s_clause 0x3
	global_load_dwordx3 v[51:53], v47, s[12:13] offset:48
	global_load_dwordx4 v[39:42], v47, s[12:13] offset:16
	global_load_dwordx4 v[43:46], v47, s[12:13]
	global_load_dwordx4 v[47:50], v47, s[12:13] offset:32
	s_waitcnt vmcnt(3)
	v_mul_f16_sdwa v57, v19, v52 dst_sel:DWORD dst_unused:UNUSED_PAD src0_sel:DWORD src1_sel:WORD_1
	v_mul_f16_sdwa v55, v37, v52 dst_sel:DWORD dst_unused:UNUSED_PAD src0_sel:DWORD src1_sel:WORD_1
	;; [unrolled: 1-line block ×6, first 2 shown]
	s_waitcnt vmcnt(1)
	v_mul_f16_sdwa v62, v32, v44 dst_sel:DWORD dst_unused:UNUSED_PAD src0_sel:DWORD src1_sel:WORD_1
	v_mul_f16_sdwa v63, v24, v43 dst_sel:DWORD dst_unused:UNUSED_PAD src0_sel:DWORD src1_sel:WORD_1
	v_fmac_f16_e32 v57, v37, v52
	s_waitcnt vmcnt(0)
	v_mul_f16_sdwa v37, v26, v47 dst_sel:DWORD dst_unused:UNUSED_PAD src0_sel:DWORD src1_sel:WORD_1
	v_mul_f16_sdwa v61, v23, v42 dst_sel:DWORD dst_unused:UNUSED_PAD src0_sel:DWORD src1_sel:WORD_1
	v_fma_f16 v19, v19, v52, -v55
	v_fma_f16 v18, v18, v51, -v56
	v_mul_f16_sdwa v55, v31, v48 dst_sel:DWORD dst_unused:UNUSED_PAD src0_sel:DWORD src1_sel:WORD_1
	v_mul_f16_sdwa v56, v15, v44 dst_sel:DWORD dst_unused:UNUSED_PAD src0_sel:DWORD src1_sel:WORD_1
	v_fmac_f16_e32 v59, v38, v53
	v_mul_f16_sdwa v38, v14, v43 dst_sel:DWORD dst_unused:UNUSED_PAD src0_sel:DWORD src1_sel:WORD_1
	v_fma_f16 v34, v34, v53, -v60
	v_mul_f16_sdwa v52, v13, v48 dst_sel:DWORD dst_unused:UNUSED_PAD src0_sel:DWORD src1_sel:WORD_1
	v_fmac_f16_e32 v58, v35, v51
	v_mul_f16_sdwa v35, v12, v47 dst_sel:DWORD dst_unused:UNUSED_PAD src0_sel:DWORD src1_sel:WORD_1
	v_mul_f16_sdwa v51, v33, v41 dst_sel:DWORD dst_unused:UNUSED_PAD src0_sel:DWORD src1_sel:WORD_1
	;; [unrolled: 1-line block ×3, first 2 shown]
	v_fma_f16 v15, v15, v44, -v62
	v_fma_f16 v14, v14, v43, -v63
	v_mul_f16_sdwa v62, v36, v40 dst_sel:DWORD dst_unused:UNUSED_PAD src0_sel:DWORD src1_sel:WORD_1
	v_mul_f16_sdwa v63, v29, v39 dst_sel:DWORD dst_unused:UNUSED_PAD src0_sel:DWORD src1_sel:WORD_1
	v_fma_f16 v12, v12, v47, -v37
	v_mul_f16_sdwa v37, v17, v40 dst_sel:DWORD dst_unused:UNUSED_PAD src0_sel:DWORD src1_sel:WORD_1
	v_mul_f16_sdwa v60, v11, v42 dst_sel:DWORD dst_unused:UNUSED_PAD src0_sel:DWORD src1_sel:WORD_1
	v_fma_f16 v13, v13, v48, -v55
	v_mul_f16_sdwa v55, v16, v39 dst_sel:DWORD dst_unused:UNUSED_PAD src0_sel:DWORD src1_sel:WORD_1
	v_fma_f16 v11, v11, v42, -v61
	v_fma_f16 v10, v10, v41, -v51
	v_mul_f16_sdwa v51, v7, v46 dst_sel:DWORD dst_unused:UNUSED_PAD src0_sel:DWORD src1_sel:WORD_1
	v_mul_f16_sdwa v61, v6, v45 dst_sel:DWORD dst_unused:UNUSED_PAD src0_sel:DWORD src1_sel:WORD_1
	v_fma_f16 v17, v17, v40, -v62
	v_fma_f16 v16, v16, v39, -v63
	v_mul_f16_sdwa v62, v8, v49 dst_sel:DWORD dst_unused:UNUSED_PAD src0_sel:DWORD src1_sel:WORD_1
	v_mul_f16_sdwa v63, v9, v50 dst_sel:DWORD dst_unused:UNUSED_PAD src0_sel:DWORD src1_sel:WORD_1
	v_fmac_f16_e32 v56, v32, v44
	v_mul_f16_sdwa v32, v27, v45 dst_sel:DWORD dst_unused:UNUSED_PAD src0_sel:DWORD src1_sel:WORD_1
	v_fmac_f16_e32 v37, v36, v40
	;; [unrolled: 2-line block ×5, first 2 shown]
	v_fmac_f16_e32 v35, v26, v47
	v_fmac_f16_e32 v55, v29, v39
	;; [unrolled: 1-line block ×6, first 2 shown]
	v_fma_f16 v6, v6, v45, -v32
	v_fma_f16 v8, v8, v49, -v36
	v_fmac_f16_e32 v60, v23, v42
	v_fma_f16 v7, v7, v46, -v31
	v_fma_f16 v9, v9, v50, -v33
	v_sub_f16_e32 v11, v22, v11
	v_sub_f16_e32 v23, v51, v63
	;; [unrolled: 1-line block ×18, first 2 shown]
	v_add_f16_e32 v34, v25, v19
	v_sub_f16_e32 v35, v12, v26
	v_sub_f16_e32 v36, v8, v27
	v_add_f16_e32 v39, v28, v29
	v_add_f16_e32 v40, v30, v18
	;; [unrolled: 1-line block ×3, first 2 shown]
	v_fma_f16 v24, v37, 2.0, -v24
	v_fma_f16 v37, v38, 2.0, -v30
	;; [unrolled: 1-line block ×16, first 2 shown]
	v_fmamk_f16 v19, v33, 0x39a8, v32
	v_fmamk_f16 v38, v36, 0x39a8, v35
	;; [unrolled: 1-line block ×4, first 2 shown]
	v_fma_f16 v11, v11, 2.0, -v32
	v_fma_f16 v13, v13, 2.0, -v33
	;; [unrolled: 1-line block ×8, first 2 shown]
	v_sub_f16_e32 v26, v37, v26
	v_sub_f16_e32 v10, v6, v10
	;; [unrolled: 1-line block ×8, first 2 shown]
	v_fmac_f16_e32 v19, 0xb9a8, v34
	v_fmac_f16_e32 v38, 0xb9a8, v39
	;; [unrolled: 1-line block ×4, first 2 shown]
	v_fmamk_f16 v33, v13, 0xb9a8, v11
	v_fmamk_f16 v34, v8, 0xb9a8, v12
	;; [unrolled: 1-line block ×4, first 2 shown]
	v_add_f16_e32 v46, v26, v10
	v_add_f16_e32 v47, v23, v17
	v_sub_f16_e32 v44, v7, v24
	v_sub_f16_e32 v45, v16, v27
	v_fma_f16 v22, v22, 2.0, -v7
	v_fma_f16 v15, v15, 2.0, -v17
	;; [unrolled: 1-line block ×11, first 2 shown]
	v_fmac_f16_e32 v33, 0xb9a8, v25
	v_fmac_f16_e32 v34, 0xb9a8, v28
	;; [unrolled: 1-line block ×4, first 2 shown]
	v_fmamk_f16 v8, v38, 0x3b64, v19
	v_fma_f16 v26, v26, 2.0, -v46
	v_fma_f16 v23, v23, 2.0, -v47
	v_fmamk_f16 v25, v45, 0x39a8, v44
	v_sub_f16_e32 v15, v22, v15
	v_sub_f16_e32 v18, v17, v18
	;; [unrolled: 1-line block ×4, first 2 shown]
	v_fma_f16 v24, v35, 2.0, -v38
	v_fmamk_f16 v13, v42, 0x3b64, v43
	v_fmamk_f16 v28, v46, 0x39a8, v47
	v_fma_f16 v7, v7, 2.0, -v44
	v_fma_f16 v16, v16, 2.0, -v45
	v_fmamk_f16 v37, v29, 0xb61f, v32
	v_fmac_f16_e32 v8, 0xb61f, v42
	v_fmamk_f16 v42, v26, 0xb9a8, v23
	v_fma_f16 v11, v11, 2.0, -v33
	v_fma_f16 v12, v12, 2.0, -v34
	;; [unrolled: 1-line block ×4, first 2 shown]
	v_fmac_f16_e32 v25, 0xb9a8, v46
	v_add_f16_e32 v46, v9, v6
	v_fma_f16 v22, v22, 2.0, -v15
	v_fma_f16 v6, v14, 2.0, -v6
	;; [unrolled: 1-line block ×4, first 2 shown]
	v_fmamk_f16 v35, v24, 0xb61f, v10
	v_fmamk_f16 v40, v34, 0x361f, v33
	;; [unrolled: 1-line block ×3, first 2 shown]
	v_fmac_f16_e32 v13, 0x361f, v38
	v_fmac_f16_e32 v28, 0x39a8, v45
	v_fmamk_f16 v38, v16, 0xb9a8, v7
	v_sub_f16_e32 v45, v15, v18
	v_fmac_f16_e32 v37, 0x3b64, v24
	v_fmac_f16_e32 v42, 0x39a8, v16
	v_fmamk_f16 v16, v12, 0xbb64, v11
	v_fmamk_f16 v24, v30, 0xbb64, v31
	v_sub_f16_e32 v6, v22, v6
	v_sub_f16_e32 v17, v14, v17
	v_fmac_f16_e32 v35, 0xbb64, v29
	v_fmac_f16_e32 v40, 0xbb64, v36
	;; [unrolled: 1-line block ×3, first 2 shown]
	v_fma_f16 v18, v19, 2.0, -v8
	v_fma_f16 v19, v43, 2.0, -v13
	v_fmac_f16_e32 v38, 0xb9a8, v26
	v_fma_f16 v15, v15, 2.0, -v45
	v_fma_f16 v9, v9, 2.0, -v46
	;; [unrolled: 1-line block ×4, first 2 shown]
	v_fmac_f16_e32 v16, 0xb61f, v30
	v_fmac_f16_e32 v24, 0x361f, v12
	v_fma_f16 v12, v22, 2.0, -v6
	v_fma_f16 v14, v14, 2.0, -v17
	v_fma_f16 v10, v10, 2.0, -v35
	v_fma_f16 v32, v32, 2.0, -v37
	v_pack_b32_f16 v25, v25, v28
	v_pack_b32_f16 v8, v8, v13
	v_fma_f16 v13, v33, 2.0, -v40
	v_fma_f16 v28, v39, 2.0, -v41
	v_pack_b32_f16 v18, v18, v19
	v_pack_b32_f16 v6, v6, v17
	v_fma_f16 v7, v7, 2.0, -v38
	v_fma_f16 v23, v23, 2.0, -v42
	;; [unrolled: 4-line block ×3, first 2 shown]
	v_pack_b32_f16 v29, v45, v46
	v_pack_b32_f16 v19, v35, v37
	;; [unrolled: 1-line block ×7, first 2 shown]
	ds_write2_b32 v20, v18, v6 offset0:42 offset1:48
	v_pack_b32_f16 v6, v16, v24
	v_pack_b32_f16 v7, v7, v23
	;; [unrolled: 1-line block ×3, first 2 shown]
	ds_write2_b32 v20, v19, v29 offset0:66 offset1:72
	ds_write2_b32 v20, v22, v25 offset0:78 offset1:84
	ds_write_b32 v21, v12
	ds_write2_b32 v20, v10, v9 offset0:18 offset1:24
	ds_write2_b32 v20, v13, v15 offset0:30 offset1:36
	;; [unrolled: 1-line block ×4, first 2 shown]
	ds_write_b32 v20, v8 offset:360
.LBB0_17:
	s_or_b32 exec_lo, exec_lo, s1
	s_waitcnt lgkmcnt(0)
	s_barrier
	buffer_gl0_inv
	s_and_saveexec_b32 s0, vcc_lo
	s_cbranch_execz .LBB0_19
; %bb.18:
	v_mul_lo_u32 v7, s3, v3
	v_mul_lo_u32 v8, s2, v4
	v_mad_u64_u32 v[3:4], null, s2, v3, 0
	v_lshl_add_u32 v16, v5, 2, v0
	v_mov_b32_e32 v6, 0
	v_lshlrev_b64 v[0:1], 2, v[1:2]
	v_add_nc_u32_e32 v2, 16, v5
	v_add_nc_u32_e32 v9, 48, v5
	ds_read2_b32 v[12:13], v16 offset1:16
	v_add3_u32 v4, v4, v8, v7
	v_lshlrev_b64 v[14:15], 2, v[5:6]
	v_add_nc_u32_e32 v7, 32, v5
	v_mov_b32_e32 v8, v6
	v_lshlrev_b64 v[10:11], 2, v[3:4]
	v_mov_b32_e32 v3, v6
	v_lshlrev_b64 v[7:8], 2, v[7:8]
	v_add_co_u32 v4, vcc_lo, s10, v10
	v_add_co_ci_u32_e32 v11, vcc_lo, s11, v11, vcc_lo
	v_mov_b32_e32 v10, v6
	v_add_co_u32 v17, vcc_lo, v4, v0
	v_add_co_ci_u32_e32 v18, vcc_lo, v11, v1, vcc_lo
	v_lshlrev_b64 v[0:1], 2, v[2:3]
	v_add_co_u32 v2, vcc_lo, v17, v14
	v_add_co_ci_u32_e32 v3, vcc_lo, v18, v15, vcc_lo
	v_add_nc_u32_e32 v11, 64, v5
	ds_read2_b32 v[14:15], v16 offset0:64 offset1:80
	v_add_co_u32 v0, vcc_lo, v17, v0
	s_waitcnt lgkmcnt(1)
	global_store_dword v[2:3], v12, off
	ds_read2_b32 v[2:3], v16 offset0:32 offset1:48
	v_mov_b32_e32 v12, v6
	v_lshlrev_b64 v[9:10], 2, v[9:10]
	v_add_nc_u32_e32 v5, 0x50, v5
	v_add_co_ci_u32_e32 v1, vcc_lo, v18, v1, vcc_lo
	v_add_co_u32 v7, vcc_lo, v17, v7
	v_lshlrev_b64 v[11:12], 2, v[11:12]
	v_add_co_ci_u32_e32 v8, vcc_lo, v18, v8, vcc_lo
	v_add_co_u32 v9, vcc_lo, v17, v9
	v_lshlrev_b64 v[4:5], 2, v[5:6]
	v_add_co_ci_u32_e32 v10, vcc_lo, v18, v10, vcc_lo
	v_add_co_u32 v11, vcc_lo, v17, v11
	v_add_co_ci_u32_e32 v12, vcc_lo, v18, v12, vcc_lo
	v_add_co_u32 v4, vcc_lo, v17, v4
	v_add_co_ci_u32_e32 v5, vcc_lo, v18, v5, vcc_lo
	global_store_dword v[0:1], v13, off
	s_waitcnt lgkmcnt(0)
	global_store_dword v[7:8], v2, off
	global_store_dword v[9:10], v3, off
	;; [unrolled: 1-line block ×4, first 2 shown]
.LBB0_19:
	s_endpgm
	.section	.rodata,"a",@progbits
	.p2align	6, 0x0
	.amdhsa_kernel fft_rtc_fwd_len96_factors_6_16_wgs_128_tpt_16_half_op_CI_CI_unitstride_sbrr_dirReg
		.amdhsa_group_segment_fixed_size 0
		.amdhsa_private_segment_fixed_size 0
		.amdhsa_kernarg_size 104
		.amdhsa_user_sgpr_count 6
		.amdhsa_user_sgpr_private_segment_buffer 1
		.amdhsa_user_sgpr_dispatch_ptr 0
		.amdhsa_user_sgpr_queue_ptr 0
		.amdhsa_user_sgpr_kernarg_segment_ptr 1
		.amdhsa_user_sgpr_dispatch_id 0
		.amdhsa_user_sgpr_flat_scratch_init 0
		.amdhsa_user_sgpr_private_segment_size 0
		.amdhsa_wavefront_size32 1
		.amdhsa_uses_dynamic_stack 0
		.amdhsa_system_sgpr_private_segment_wavefront_offset 0
		.amdhsa_system_sgpr_workgroup_id_x 1
		.amdhsa_system_sgpr_workgroup_id_y 0
		.amdhsa_system_sgpr_workgroup_id_z 0
		.amdhsa_system_sgpr_workgroup_info 0
		.amdhsa_system_vgpr_workitem_id 0
		.amdhsa_next_free_vgpr 64
		.amdhsa_next_free_sgpr 27
		.amdhsa_reserve_vcc 1
		.amdhsa_reserve_flat_scratch 0
		.amdhsa_float_round_mode_32 0
		.amdhsa_float_round_mode_16_64 0
		.amdhsa_float_denorm_mode_32 3
		.amdhsa_float_denorm_mode_16_64 3
		.amdhsa_dx10_clamp 1
		.amdhsa_ieee_mode 1
		.amdhsa_fp16_overflow 0
		.amdhsa_workgroup_processor_mode 1
		.amdhsa_memory_ordered 1
		.amdhsa_forward_progress 0
		.amdhsa_shared_vgpr_count 0
		.amdhsa_exception_fp_ieee_invalid_op 0
		.amdhsa_exception_fp_denorm_src 0
		.amdhsa_exception_fp_ieee_div_zero 0
		.amdhsa_exception_fp_ieee_overflow 0
		.amdhsa_exception_fp_ieee_underflow 0
		.amdhsa_exception_fp_ieee_inexact 0
		.amdhsa_exception_int_div_zero 0
	.end_amdhsa_kernel
	.text
.Lfunc_end0:
	.size	fft_rtc_fwd_len96_factors_6_16_wgs_128_tpt_16_half_op_CI_CI_unitstride_sbrr_dirReg, .Lfunc_end0-fft_rtc_fwd_len96_factors_6_16_wgs_128_tpt_16_half_op_CI_CI_unitstride_sbrr_dirReg
                                        ; -- End function
	.section	.AMDGPU.csdata,"",@progbits
; Kernel info:
; codeLenInByte = 4192
; NumSgprs: 29
; NumVgprs: 64
; ScratchSize: 0
; MemoryBound: 0
; FloatMode: 240
; IeeeMode: 1
; LDSByteSize: 0 bytes/workgroup (compile time only)
; SGPRBlocks: 3
; VGPRBlocks: 7
; NumSGPRsForWavesPerEU: 29
; NumVGPRsForWavesPerEU: 64
; Occupancy: 16
; WaveLimiterHint : 1
; COMPUTE_PGM_RSRC2:SCRATCH_EN: 0
; COMPUTE_PGM_RSRC2:USER_SGPR: 6
; COMPUTE_PGM_RSRC2:TRAP_HANDLER: 0
; COMPUTE_PGM_RSRC2:TGID_X_EN: 1
; COMPUTE_PGM_RSRC2:TGID_Y_EN: 0
; COMPUTE_PGM_RSRC2:TGID_Z_EN: 0
; COMPUTE_PGM_RSRC2:TIDIG_COMP_CNT: 0
	.text
	.p2alignl 6, 3214868480
	.fill 48, 4, 3214868480
	.type	__hip_cuid_e6f07d5dc87f22fc,@object ; @__hip_cuid_e6f07d5dc87f22fc
	.section	.bss,"aw",@nobits
	.globl	__hip_cuid_e6f07d5dc87f22fc
__hip_cuid_e6f07d5dc87f22fc:
	.byte	0                               ; 0x0
	.size	__hip_cuid_e6f07d5dc87f22fc, 1

	.ident	"AMD clang version 19.0.0git (https://github.com/RadeonOpenCompute/llvm-project roc-6.4.0 25133 c7fe45cf4b819c5991fe208aaa96edf142730f1d)"
	.section	".note.GNU-stack","",@progbits
	.addrsig
	.addrsig_sym __hip_cuid_e6f07d5dc87f22fc
	.amdgpu_metadata
---
amdhsa.kernels:
  - .args:
      - .actual_access:  read_only
        .address_space:  global
        .offset:         0
        .size:           8
        .value_kind:     global_buffer
      - .offset:         8
        .size:           8
        .value_kind:     by_value
      - .actual_access:  read_only
        .address_space:  global
        .offset:         16
        .size:           8
        .value_kind:     global_buffer
      - .actual_access:  read_only
        .address_space:  global
        .offset:         24
        .size:           8
        .value_kind:     global_buffer
      - .actual_access:  read_only
        .address_space:  global
        .offset:         32
        .size:           8
        .value_kind:     global_buffer
      - .offset:         40
        .size:           8
        .value_kind:     by_value
      - .actual_access:  read_only
        .address_space:  global
        .offset:         48
        .size:           8
        .value_kind:     global_buffer
      - .actual_access:  read_only
        .address_space:  global
        .offset:         56
        .size:           8
        .value_kind:     global_buffer
      - .offset:         64
        .size:           4
        .value_kind:     by_value
      - .actual_access:  read_only
        .address_space:  global
        .offset:         72
        .size:           8
        .value_kind:     global_buffer
      - .actual_access:  read_only
        .address_space:  global
        .offset:         80
        .size:           8
        .value_kind:     global_buffer
      - .actual_access:  read_only
        .address_space:  global
        .offset:         88
        .size:           8
        .value_kind:     global_buffer
      - .actual_access:  write_only
        .address_space:  global
        .offset:         96
        .size:           8
        .value_kind:     global_buffer
    .group_segment_fixed_size: 0
    .kernarg_segment_align: 8
    .kernarg_segment_size: 104
    .language:       OpenCL C
    .language_version:
      - 2
      - 0
    .max_flat_workgroup_size: 128
    .name:           fft_rtc_fwd_len96_factors_6_16_wgs_128_tpt_16_half_op_CI_CI_unitstride_sbrr_dirReg
    .private_segment_fixed_size: 0
    .sgpr_count:     29
    .sgpr_spill_count: 0
    .symbol:         fft_rtc_fwd_len96_factors_6_16_wgs_128_tpt_16_half_op_CI_CI_unitstride_sbrr_dirReg.kd
    .uniform_work_group_size: 1
    .uses_dynamic_stack: false
    .vgpr_count:     64
    .vgpr_spill_count: 0
    .wavefront_size: 32
    .workgroup_processor_mode: 1
amdhsa.target:   amdgcn-amd-amdhsa--gfx1030
amdhsa.version:
  - 1
  - 2
...

	.end_amdgpu_metadata
